;; amdgpu-corpus repo=ROCm/rocFFT kind=compiled arch=gfx1030 opt=O3
	.text
	.amdgcn_target "amdgcn-amd-amdhsa--gfx1030"
	.amdhsa_code_object_version 6
	.protected	fft_rtc_fwd_len2048_factors_16_16_8_wgs_256_tpt_256_halfLds_dp_op_CI_CI_unitstride_sbrr_dirReg ; -- Begin function fft_rtc_fwd_len2048_factors_16_16_8_wgs_256_tpt_256_halfLds_dp_op_CI_CI_unitstride_sbrr_dirReg
	.globl	fft_rtc_fwd_len2048_factors_16_16_8_wgs_256_tpt_256_halfLds_dp_op_CI_CI_unitstride_sbrr_dirReg
	.p2align	8
	.type	fft_rtc_fwd_len2048_factors_16_16_8_wgs_256_tpt_256_halfLds_dp_op_CI_CI_unitstride_sbrr_dirReg,@function
fft_rtc_fwd_len2048_factors_16_16_8_wgs_256_tpt_256_halfLds_dp_op_CI_CI_unitstride_sbrr_dirReg: ; @fft_rtc_fwd_len2048_factors_16_16_8_wgs_256_tpt_256_halfLds_dp_op_CI_CI_unitstride_sbrr_dirReg
; %bb.0:
	s_clause 0x2
	s_load_dwordx4 s[12:15], s[4:5], 0x0
	s_load_dwordx4 s[8:11], s[4:5], 0x58
	;; [unrolled: 1-line block ×3, first 2 shown]
	v_mov_b32_e32 v1, 0
	v_mov_b32_e32 v13, 0
	v_mov_b32_e32 v3, s6
	v_mov_b32_e32 v14, 0
	v_mov_b32_e32 v4, v1
	s_waitcnt lgkmcnt(0)
	v_cmp_lt_u64_e64 s0, s[14:15], 2
	s_and_b32 vcc_lo, exec_lo, s0
	s_cbranch_vccnz .LBB0_8
; %bb.1:
	s_load_dwordx2 s[0:1], s[4:5], 0x10
	v_mov_b32_e32 v13, 0
	v_mov_b32_e32 v14, 0
	s_add_u32 s2, s18, 8
	s_addc_u32 s3, s19, 0
	s_add_u32 s6, s16, 8
	s_addc_u32 s7, s17, 0
	v_mov_b32_e32 v68, v14
	v_mov_b32_e32 v67, v13
	s_mov_b64 s[22:23], 1
	s_waitcnt lgkmcnt(0)
	s_add_u32 s20, s0, 8
	s_addc_u32 s21, s1, 0
.LBB0_2:                                ; =>This Inner Loop Header: Depth=1
	s_load_dwordx2 s[24:25], s[20:21], 0x0
                                        ; implicit-def: $vgpr69_vgpr70
	s_mov_b32 s0, exec_lo
	s_waitcnt lgkmcnt(0)
	v_or_b32_e32 v2, s25, v4
	v_cmpx_ne_u64_e32 0, v[1:2]
	s_xor_b32 s1, exec_lo, s0
	s_cbranch_execz .LBB0_4
; %bb.3:                                ;   in Loop: Header=BB0_2 Depth=1
	v_cvt_f32_u32_e32 v2, s24
	v_cvt_f32_u32_e32 v5, s25
	s_sub_u32 s0, 0, s24
	s_subb_u32 s26, 0, s25
	v_fmac_f32_e32 v2, 0x4f800000, v5
	v_rcp_f32_e32 v2, v2
	v_mul_f32_e32 v2, 0x5f7ffffc, v2
	v_mul_f32_e32 v5, 0x2f800000, v2
	v_trunc_f32_e32 v5, v5
	v_fmac_f32_e32 v2, 0xcf800000, v5
	v_cvt_u32_f32_e32 v5, v5
	v_cvt_u32_f32_e32 v2, v2
	v_mul_lo_u32 v6, s0, v5
	v_mul_hi_u32 v7, s0, v2
	v_mul_lo_u32 v8, s26, v2
	v_add_nc_u32_e32 v6, v7, v6
	v_mul_lo_u32 v7, s0, v2
	v_add_nc_u32_e32 v6, v6, v8
	v_mul_hi_u32 v8, v2, v7
	v_mul_lo_u32 v9, v2, v6
	v_mul_hi_u32 v10, v2, v6
	v_mul_hi_u32 v11, v5, v7
	v_mul_lo_u32 v7, v5, v7
	v_mul_hi_u32 v12, v5, v6
	v_mul_lo_u32 v6, v5, v6
	v_add_co_u32 v8, vcc_lo, v8, v9
	v_add_co_ci_u32_e32 v9, vcc_lo, 0, v10, vcc_lo
	v_add_co_u32 v7, vcc_lo, v8, v7
	v_add_co_ci_u32_e32 v7, vcc_lo, v9, v11, vcc_lo
	v_add_co_ci_u32_e32 v8, vcc_lo, 0, v12, vcc_lo
	v_add_co_u32 v6, vcc_lo, v7, v6
	v_add_co_ci_u32_e32 v7, vcc_lo, 0, v8, vcc_lo
	v_add_co_u32 v2, vcc_lo, v2, v6
	v_add_co_ci_u32_e32 v5, vcc_lo, v5, v7, vcc_lo
	v_mul_hi_u32 v6, s0, v2
	v_mul_lo_u32 v8, s26, v2
	v_mul_lo_u32 v7, s0, v5
	v_add_nc_u32_e32 v6, v6, v7
	v_mul_lo_u32 v7, s0, v2
	v_add_nc_u32_e32 v6, v6, v8
	v_mul_hi_u32 v8, v2, v7
	v_mul_lo_u32 v9, v2, v6
	v_mul_hi_u32 v10, v2, v6
	v_mul_hi_u32 v11, v5, v7
	v_mul_lo_u32 v7, v5, v7
	v_mul_hi_u32 v12, v5, v6
	v_mul_lo_u32 v6, v5, v6
	v_add_co_u32 v8, vcc_lo, v8, v9
	v_add_co_ci_u32_e32 v9, vcc_lo, 0, v10, vcc_lo
	v_add_co_u32 v7, vcc_lo, v8, v7
	v_add_co_ci_u32_e32 v7, vcc_lo, v9, v11, vcc_lo
	v_add_co_ci_u32_e32 v8, vcc_lo, 0, v12, vcc_lo
	v_add_co_u32 v6, vcc_lo, v7, v6
	v_add_co_ci_u32_e32 v7, vcc_lo, 0, v8, vcc_lo
	v_add_co_u32 v2, vcc_lo, v2, v6
	v_add_co_ci_u32_e32 v9, vcc_lo, v5, v7, vcc_lo
	v_mul_hi_u32 v11, v3, v2
	v_mad_u64_u32 v[7:8], null, v4, v2, 0
	v_mad_u64_u32 v[5:6], null, v3, v9, 0
	;; [unrolled: 1-line block ×3, first 2 shown]
	v_add_co_u32 v2, vcc_lo, v11, v5
	v_add_co_ci_u32_e32 v5, vcc_lo, 0, v6, vcc_lo
	v_add_co_u32 v2, vcc_lo, v2, v7
	v_add_co_ci_u32_e32 v2, vcc_lo, v5, v8, vcc_lo
	v_add_co_ci_u32_e32 v5, vcc_lo, 0, v10, vcc_lo
	v_add_co_u32 v2, vcc_lo, v2, v9
	v_add_co_ci_u32_e32 v7, vcc_lo, 0, v5, vcc_lo
	v_mul_lo_u32 v8, s25, v2
	v_mad_u64_u32 v[5:6], null, s24, v2, 0
	v_mul_lo_u32 v9, s24, v7
	v_sub_co_u32 v5, vcc_lo, v3, v5
	v_add3_u32 v6, v6, v9, v8
	v_sub_nc_u32_e32 v8, v4, v6
	v_subrev_co_ci_u32_e64 v8, s0, s25, v8, vcc_lo
	v_add_co_u32 v9, s0, v2, 2
	v_add_co_ci_u32_e64 v10, s0, 0, v7, s0
	v_sub_co_u32 v11, s0, v5, s24
	v_sub_co_ci_u32_e32 v6, vcc_lo, v4, v6, vcc_lo
	v_subrev_co_ci_u32_e64 v8, s0, 0, v8, s0
	v_cmp_le_u32_e32 vcc_lo, s24, v11
	v_cmp_eq_u32_e64 s0, s25, v6
	v_cndmask_b32_e64 v11, 0, -1, vcc_lo
	v_cmp_le_u32_e32 vcc_lo, s25, v8
	v_cndmask_b32_e64 v12, 0, -1, vcc_lo
	v_cmp_le_u32_e32 vcc_lo, s24, v5
	;; [unrolled: 2-line block ×3, first 2 shown]
	v_cndmask_b32_e64 v15, 0, -1, vcc_lo
	v_cmp_eq_u32_e32 vcc_lo, s25, v8
	v_cndmask_b32_e64 v5, v15, v5, s0
	v_cndmask_b32_e32 v8, v12, v11, vcc_lo
	v_add_co_u32 v11, vcc_lo, v2, 1
	v_add_co_ci_u32_e32 v12, vcc_lo, 0, v7, vcc_lo
	v_cmp_ne_u32_e32 vcc_lo, 0, v8
	v_cndmask_b32_e32 v6, v12, v10, vcc_lo
	v_cndmask_b32_e32 v8, v11, v9, vcc_lo
	v_cmp_ne_u32_e32 vcc_lo, 0, v5
	v_cndmask_b32_e32 v70, v7, v6, vcc_lo
	v_cndmask_b32_e32 v69, v2, v8, vcc_lo
.LBB0_4:                                ;   in Loop: Header=BB0_2 Depth=1
	s_andn2_saveexec_b32 s0, s1
	s_cbranch_execz .LBB0_6
; %bb.5:                                ;   in Loop: Header=BB0_2 Depth=1
	v_cvt_f32_u32_e32 v2, s24
	s_sub_i32 s1, 0, s24
	v_mov_b32_e32 v70, v1
	v_rcp_iflag_f32_e32 v2, v2
	v_mul_f32_e32 v2, 0x4f7ffffe, v2
	v_cvt_u32_f32_e32 v2, v2
	v_mul_lo_u32 v5, s1, v2
	v_mul_hi_u32 v5, v2, v5
	v_add_nc_u32_e32 v2, v2, v5
	v_mul_hi_u32 v2, v3, v2
	v_mul_lo_u32 v5, v2, s24
	v_add_nc_u32_e32 v6, 1, v2
	v_sub_nc_u32_e32 v5, v3, v5
	v_subrev_nc_u32_e32 v7, s24, v5
	v_cmp_le_u32_e32 vcc_lo, s24, v5
	v_cndmask_b32_e32 v5, v5, v7, vcc_lo
	v_cndmask_b32_e32 v2, v2, v6, vcc_lo
	v_cmp_le_u32_e32 vcc_lo, s24, v5
	v_add_nc_u32_e32 v6, 1, v2
	v_cndmask_b32_e32 v69, v2, v6, vcc_lo
.LBB0_6:                                ;   in Loop: Header=BB0_2 Depth=1
	s_or_b32 exec_lo, exec_lo, s0
	v_mul_lo_u32 v2, v70, s24
	v_mul_lo_u32 v7, v69, s25
	s_load_dwordx2 s[0:1], s[6:7], 0x0
	v_mad_u64_u32 v[5:6], null, v69, s24, 0
	s_load_dwordx2 s[24:25], s[2:3], 0x0
	s_add_u32 s22, s22, 1
	s_addc_u32 s23, s23, 0
	s_add_u32 s2, s2, 8
	s_addc_u32 s3, s3, 0
	s_add_u32 s6, s6, 8
	v_add3_u32 v2, v6, v7, v2
	v_sub_co_u32 v3, vcc_lo, v3, v5
	s_addc_u32 s7, s7, 0
	s_add_u32 s20, s20, 8
	v_sub_co_ci_u32_e32 v2, vcc_lo, v4, v2, vcc_lo
	s_addc_u32 s21, s21, 0
	s_waitcnt lgkmcnt(0)
	v_mul_lo_u32 v4, s0, v2
	v_mul_lo_u32 v5, s1, v3
	v_mad_u64_u32 v[13:14], null, s0, v3, v[13:14]
	v_mul_lo_u32 v2, s24, v2
	v_mul_lo_u32 v6, s25, v3
	v_mad_u64_u32 v[67:68], null, s24, v3, v[67:68]
	v_cmp_ge_u64_e64 s0, s[22:23], s[14:15]
	v_add3_u32 v14, v5, v14, v4
	v_add3_u32 v68, v6, v68, v2
	s_and_b32 vcc_lo, exec_lo, s0
	s_cbranch_vccnz .LBB0_9
; %bb.7:                                ;   in Loop: Header=BB0_2 Depth=1
	v_mov_b32_e32 v3, v69
	v_mov_b32_e32 v4, v70
	s_branch .LBB0_2
.LBB0_8:
	v_mov_b32_e32 v68, v14
	v_mov_b32_e32 v70, v4
	;; [unrolled: 1-line block ×4, first 2 shown]
.LBB0_9:
	s_load_dwordx2 s[0:1], s[4:5], 0x28
	s_lshl_b64 s[4:5], s[14:15], 3
	v_mov_b32_e32 v99, 0
	s_add_u32 s2, s18, s4
	s_addc_u32 s3, s19, s5
                                        ; implicit-def: $vgpr3_vgpr4
                                        ; implicit-def: $vgpr11_vgpr12
                                        ; implicit-def: $vgpr29_vgpr30
                                        ; implicit-def: $vgpr21_vgpr22
                                        ; implicit-def: $vgpr7_vgpr8
                                        ; implicit-def: $vgpr33_vgpr34
                                        ; implicit-def: $vgpr37_vgpr38
                                        ; implicit-def: $vgpr25_vgpr26
                                        ; implicit-def: $vgpr45_vgpr46
                                        ; implicit-def: $vgpr57_vgpr58
                                        ; implicit-def: $vgpr49_vgpr50
                                        ; implicit-def: $vgpr61_vgpr62
                                        ; implicit-def: $vgpr53_vgpr54
                                        ; implicit-def: $vgpr65_vgpr66
                                        ; implicit-def: $vgpr41_vgpr42
                                        ; implicit-def: $vgpr17_vgpr18
	s_load_dwordx2 s[2:3], s[2:3], 0x0
	s_waitcnt lgkmcnt(0)
	v_cmp_gt_u64_e32 vcc_lo, s[0:1], v[69:70]
	s_and_saveexec_b32 s1, vcc_lo
	s_cbranch_execz .LBB0_13
; %bb.10:
	s_mov_b32 s6, exec_lo
                                        ; implicit-def: $vgpr15_vgpr16
                                        ; implicit-def: $vgpr39_vgpr40
                                        ; implicit-def: $vgpr63_vgpr64
                                        ; implicit-def: $vgpr51_vgpr52
                                        ; implicit-def: $vgpr59_vgpr60
                                        ; implicit-def: $vgpr47_vgpr48
                                        ; implicit-def: $vgpr55_vgpr56
                                        ; implicit-def: $vgpr43_vgpr44
                                        ; implicit-def: $vgpr23_vgpr24
                                        ; implicit-def: $vgpr35_vgpr36
                                        ; implicit-def: $vgpr31_vgpr32
                                        ; implicit-def: $vgpr5_vgpr6
                                        ; implicit-def: $vgpr19_vgpr20
                                        ; implicit-def: $vgpr27_vgpr28
                                        ; implicit-def: $vgpr9_vgpr10
                                        ; implicit-def: $vgpr1_vgpr2
	v_cmpx_gt_u32_e32 0x80, v0
	s_cbranch_execz .LBB0_12
; %bb.11:
	s_add_u32 s4, s16, s4
	s_addc_u32 s5, s17, s5
	v_lshlrev_b32_e32 v43, 4, v0
	s_load_dwordx2 s[4:5], s[4:5], 0x0
	v_or_b32_e32 v5, 0x800, v43
	v_or_b32_e32 v6, 0x1000, v43
	;; [unrolled: 1-line block ×11, first 2 shown]
	s_waitcnt lgkmcnt(0)
	v_mul_lo_u32 v3, s5, v69
	v_mul_lo_u32 v4, s4, v70
	v_mad_u64_u32 v[1:2], null, s4, v69, 0
	v_add3_u32 v2, v2, v4, v3
	v_lshlrev_b64 v[3:4], 4, v[13:14]
	v_lshlrev_b64 v[1:2], 4, v[1:2]
	v_add_co_u32 v1, s0, s8, v1
	v_add_co_ci_u32_e64 v2, s0, s9, v2, s0
	v_add_co_u32 v44, s0, v1, v3
	v_add_co_ci_u32_e64 v45, s0, v2, v4, s0
	;; [unrolled: 2-line block ×8, first 2 shown]
	s_clause 0x5
	global_load_dwordx4 v[15:18], v[1:2], off
	global_load_dwordx4 v[1:4], v[3:4], off
	;; [unrolled: 1-line block ×6, first 2 shown]
	v_add_co_u32 v13, s0, v44, v25
	v_or_b32_e32 v25, 0x4000, v43
	v_add_co_ci_u32_e64 v14, s0, 0, v45, s0
	v_add_co_u32 v23, s0, v44, v26
	v_add_co_ci_u32_e64 v24, s0, 0, v45, s0
	v_add_co_u32 v25, s0, v44, v25
	;; [unrolled: 2-line block ×3, first 2 shown]
	s_clause 0x1
	global_load_dwordx4 v[31:34], v[13:14], off
	global_load_dwordx4 v[35:38], v[23:24], off
	v_or_b32_e32 v13, 0x5000, v43
	v_add_co_ci_u32_e64 v40, s0, 0, v45, s0
	s_clause 0x1
	global_load_dwordx4 v[23:26], v[25:26], off
	global_load_dwordx4 v[39:42], v[39:40], off
	v_add_co_u32 v13, s0, v44, v13
	v_add_co_ci_u32_e64 v14, s0, 0, v45, s0
	v_add_co_u32 v47, s0, v44, v46
	v_or_b32_e32 v46, 0x6800, v43
	v_add_co_ci_u32_e64 v48, s0, 0, v45, s0
	v_add_co_u32 v49, s0, v44, v49
	v_add_co_ci_u32_e64 v50, s0, 0, v45, s0
	v_add_co_u32 v51, s0, v44, v46
	v_or_b32_e32 v43, 0x7800, v43
	v_add_co_ci_u32_e64 v52, s0, 0, v45, s0
	v_add_co_u32 v53, s0, v44, v53
	v_add_co_ci_u32_e64 v54, s0, 0, v45, s0
	v_add_co_u32 v63, s0, v44, v43
	v_add_co_ci_u32_e64 v64, s0, 0, v45, s0
	s_clause 0x5
	global_load_dwordx4 v[43:46], v[13:14], off
	global_load_dwordx4 v[55:58], v[47:48], off
	;; [unrolled: 1-line block ×6, first 2 shown]
.LBB0_12:
	s_or_b32 exec_lo, exec_lo, s6
	v_mov_b32_e32 v99, v0
.LBB0_13:
	s_or_b32 exec_lo, exec_lo, s1
	s_waitcnt vmcnt(6)
	v_add_f64 v[13:14], v[1:2], -v[39:40]
	s_waitcnt vmcnt(2)
	v_add_f64 v[39:40], v[7:8], -v[61:62]
	v_add_f64 v[55:56], v[27:28], -v[55:56]
	s_waitcnt vmcnt(0)
	v_add_f64 v[61:62], v[37:38], -v[65:66]
	v_add_f64 v[49:50], v[21:22], -v[49:50]
	;; [unrolled: 1-line block ×12, first 2 shown]
	s_mov_b32 s4, 0x667f3bcd
	s_mov_b32 s5, 0x3fe6a09e
	;; [unrolled: 1-line block ×7, first 2 shown]
	v_fma_f64 v[1:2], v[1:2], 2.0, -v[13:14]
	v_add_f64 v[51:52], v[13:14], -v[39:40]
	v_fma_f64 v[27:28], v[27:28], 2.0, -v[55:56]
	v_add_f64 v[71:72], v[55:56], -v[61:62]
	v_fma_f64 v[37:38], v[37:38], 2.0, -v[61:62]
	v_fma_f64 v[9:10], v[9:10], 2.0, -v[43:44]
	v_add_f64 v[75:76], v[65:66], -v[49:50]
	v_add_f64 v[73:74], v[43:44], -v[53:54]
	v_fma_f64 v[5:6], v[5:6], 2.0, -v[59:60]
	v_add_f64 v[89:90], v[59:60], v[41:42]
	v_fma_f64 v[29:30], v[29:30], 2.0, -v[57:58]
	v_add_f64 v[83:84], v[57:58], v[63:64]
	v_fma_f64 v[15:16], v[15:16], 2.0, -v[65:66]
	v_fma_f64 v[59:60], v[19:20], 2.0, -v[23:24]
	;; [unrolled: 1-line block ×5, first 2 shown]
	v_add_f64 v[77:78], v[45:46], v[47:48]
	v_fma_f64 v[35:36], v[35:36], 2.0, -v[63:64]
	v_fma_f64 v[7:8], v[7:8], 2.0, -v[39:40]
	;; [unrolled: 1-line block ×3, first 2 shown]
	s_mov_b32 s8, s6
	v_lshl_add_u32 v100, v0, 7, 0
	v_fma_f64 v[13:14], v[13:14], 2.0, -v[51:52]
	v_fma_f64 v[33:34], v[71:72], s[4:5], v[51:52]
	v_fma_f64 v[55:56], v[55:56], 2.0, -v[71:72]
	v_fma_f64 v[53:54], v[65:66], 2.0, -v[75:76]
	v_fma_f64 v[47:48], v[73:74], s[4:5], v[75:76]
	v_fma_f64 v[79:80], v[43:44], 2.0, -v[73:74]
	v_fma_f64 v[41:42], v[41:42], 2.0, -v[89:90]
	v_add_f64 v[5:6], v[1:2], -v[5:6]
	v_fma_f64 v[39:40], v[83:84], s[4:5], v[89:90]
	v_fma_f64 v[61:62], v[57:58], 2.0, -v[83:84]
	v_add_f64 v[63:64], v[15:16], -v[59:60]
	v_add_f64 v[57:58], v[9:10], -v[11:12]
	;; [unrolled: 1-line block ×4, first 2 shown]
	v_fma_f64 v[81:82], v[45:46], 2.0, -v[77:78]
	v_add_f64 v[35:36], v[27:28], -v[35:36]
	v_add_f64 v[7:8], v[3:4], -v[7:8]
	v_fma_f64 v[37:38], v[77:78], s[0:1], v[47:48]
	v_fma_f64 v[47:48], v[83:84], s[0:1], v[33:34]
	;; [unrolled: 1-line block ×6, first 2 shown]
	v_fma_f64 v[15:16], v[15:16], 2.0, -v[63:64]
	v_fma_f64 v[1:2], v[1:2], 2.0, -v[5:6]
	;; [unrolled: 1-line block ×3, first 2 shown]
	v_add_f64 v[91:92], v[63:64], -v[59:60]
	v_add_f64 v[83:84], v[5:6], -v[31:32]
	v_fma_f64 v[27:28], v[27:28], 2.0, -v[35:36]
	v_add_f64 v[85:86], v[35:36], v[7:8]
	v_fma_f64 v[65:66], v[3:4], 2.0, -v[7:8]
	v_fma_f64 v[95:96], v[75:76], 2.0, -v[37:38]
	;; [unrolled: 1-line block ×3, first 2 shown]
	v_fma_f64 v[97:98], v[81:82], s[0:1], v[11:12]
	v_fma_f64 v[45:46], v[61:62], s[0:1], v[33:34]
	v_fma_f64 v[11:12], v[29:30], 2.0, -v[31:32]
	v_fma_f64 v[61:62], v[55:56], s[4:5], v[39:40]
	v_fma_f64 v[35:36], v[63:64], 2.0, -v[91:92]
	v_fma_f64 v[87:88], v[5:6], 2.0, -v[83:84]
	;; [unrolled: 1-line block ×3, first 2 shown]
	v_add_f64 v[5:6], v[15:16], -v[9:10]
	v_add_f64 v[55:56], v[1:2], -v[27:28]
	v_fma_f64 v[93:94], v[7:8], 2.0, -v[85:86]
	v_fma_f64 v[3:4], v[51:52], s[6:7], v[95:96]
	v_fma_f64 v[89:90], v[53:54], 2.0, -v[97:98]
	v_fma_f64 v[53:54], v[13:14], 2.0, -v[45:46]
	v_fma_f64 v[9:10], v[45:46], s[8:9], v[97:98]
	s_mov_b32 s9, 0xbfed906b
	s_mov_b32 s8, 0xcf328d46
	v_add_f64 v[75:76], v[65:66], -v[11:12]
	v_fma_f64 v[71:72], v[41:42], 2.0, -v[61:62]
	v_fma_f64 v[13:14], v[83:84], s[4:5], v[91:92]
	v_fma_f64 v[7:8], v[87:88], s[0:1], v[35:36]
	v_fma_f64 v[15:16], v[15:16], 2.0, -v[5:6]
	v_fma_f64 v[1:2], v[1:2], 2.0, -v[55:56]
	v_fma_f64 v[33:34], v[63:64], s[8:9], v[3:4]
	v_fma_f64 v[3:4], v[53:54], s[8:9], v[89:90]
	;; [unrolled: 1-line block ×3, first 2 shown]
	s_mov_b32 s9, 0x3fed906b
	v_fma_f64 v[29:30], v[47:48], s[8:9], v[37:38]
	v_add_f64 v[9:10], v[5:6], -v[75:76]
	v_fma_f64 v[27:28], v[85:86], s[0:1], v[13:14]
	v_fma_f64 v[31:32], v[93:94], s[0:1], v[7:8]
	v_cmp_gt_u32_e64 s0, 0x80, v0
	v_add_f64 v[1:2], v[15:16], -v[1:2]
	v_fma_f64 v[41:42], v[95:96], 2.0, -v[33:34]
	v_fma_f64 v[3:4], v[71:72], s[6:7], v[3:4]
	v_fma_f64 v[29:30], v[43:44], s[6:7], v[29:30]
	v_fma_f64 v[13:14], v[5:6], 2.0, -v[9:10]
	v_fma_f64 v[39:40], v[35:36], 2.0, -v[31:32]
	;; [unrolled: 1-line block ×7, first 2 shown]
	s_and_saveexec_b32 s1, s0
	s_cbranch_execz .LBB0_15
; %bb.14:
	ds_write_b128 v100, v[5:8]
	ds_write_b128 v100, v[39:42] offset:16
	ds_write_b128 v100, v[13:16] offset:32
	;; [unrolled: 1-line block ×7, first 2 shown]
.LBB0_15:
	s_or_b32 exec_lo, exec_lo, s1
	v_mul_f64 v[89:90], v[79:80], s[4:5]
	v_mul_f64 v[95:96], v[81:82], s[4:5]
	v_mul_f64 v[91:92], v[73:74], s[4:5]
	v_mul_f64 v[97:98], v[77:78], s[4:5]
	v_mul_f64 v[77:78], v[87:88], s[4:5]
	v_mul_f64 v[81:82], v[93:94], s[4:5]
	v_mul_f64 v[73:74], v[83:84], s[4:5]
	v_mul_f64 v[79:80], v[85:86], s[4:5]
	v_lshl_add_u32 v83, v0, 3, 0
	v_lshlrev_b32_e32 v84, 3, v0
	s_waitcnt lgkmcnt(0)
	s_barrier
	buffer_gl0_inv
	s_and_saveexec_b32 s1, s0
	s_cbranch_execz .LBB0_17
; %bb.16:
	v_or_b32_e32 v2, 0x1c00, v84
	v_add_nc_u32_e32 v1, 0, v84
	v_or_b32_e32 v3, 0x3c00, v84
	ds_read2st64_b64 v[5:8], v83 offset1:2
	ds_read2st64_b64 v[39:42], v83 offset0:4 offset1:6
	ds_read2st64_b64 v[13:16], v83 offset0:8 offset1:10
	;; [unrolled: 1-line block ×3, first 2 shown]
	v_add_nc_u32_e32 v27, 0, v2
	v_add_nc_u32_e32 v28, 0, v3
	ds_read2st64_b64 v[1:4], v83 offset0:16 offset1:18
	ds_read2st64_b64 v[31:34], v83 offset0:20 offset1:22
	;; [unrolled: 1-line block ×3, first 2 shown]
	ds_read_b64 v[37:38], v27
	ds_read_b64 v[29:30], v28
	s_waitcnt lgkmcnt(5)
	v_mov_b32_e32 v35, v85
	v_mov_b32_e32 v27, v87
	;; [unrolled: 1-line block ×4, first 2 shown]
.LBB0_17:
	s_or_b32 exec_lo, exec_lo, s1
	v_add_f64 v[25:26], v[17:18], -v[25:26]
	v_fma_f64 v[21:22], v[21:22], 2.0, -v[49:50]
	v_fma_f64 v[19:20], v[19:20], 2.0, -v[59:60]
	s_mov_b32 s6, 0xa6aea964
	s_mov_b32 s5, 0xbfed906b
	;; [unrolled: 1-line block ×6, first 2 shown]
	s_waitcnt lgkmcnt(0)
	s_barrier
	buffer_gl0_inv
	v_add_f64 v[23:24], v[23:24], v[25:26]
	v_fma_f64 v[17:18], v[17:18], 2.0, -v[25:26]
	v_fma_f64 v[25:26], v[25:26], 2.0, -v[23:24]
	v_add_f64 v[49:50], v[97:98], v[23:24]
	v_add_f64 v[21:22], v[17:18], -v[21:22]
	v_add_f64 v[85:86], v[25:26], -v[95:96]
	v_add_f64 v[87:88], v[91:92], v[49:50]
	v_fma_f64 v[17:18], v[17:18], 2.0, -v[21:22]
	v_add_f64 v[59:60], v[57:58], v[21:22]
	v_add_f64 v[49:50], v[89:90], v[85:86]
	v_fma_f64 v[89:90], v[23:24], 2.0, -v[87:88]
	v_add_f64 v[19:20], v[17:18], -v[19:20]
	v_fma_f64 v[85:86], v[21:22], 2.0, -v[59:60]
	v_fma_f64 v[21:22], v[65:66], 2.0, -v[75:76]
	v_add_f64 v[65:66], v[79:80], v[59:60]
	v_fma_f64 v[25:26], v[25:26], 2.0, -v[49:50]
	v_fma_f64 v[57:58], v[63:64], s[8:9], v[89:90]
	v_fma_f64 v[17:18], v[17:18], 2.0, -v[19:20]
	v_add_f64 v[23:24], v[85:86], -v[81:82]
	v_fma_f64 v[61:62], v[61:62], s[6:7], v[49:50]
	v_fma_f64 v[63:64], v[71:72], s[4:5], v[25:26]
	s_mov_b32 s5, 0x3fed906b
	v_add_f64 v[21:22], v[17:18], -v[21:22]
	v_fma_f64 v[71:72], v[43:44], s[4:5], v[87:88]
	v_add_f64 v[43:44], v[55:56], v[19:20]
	v_add_f64 v[55:56], v[77:78], v[23:24]
	v_fma_f64 v[57:58], v[51:52], s[4:5], v[57:58]
	v_fma_f64 v[45:46], v[45:46], s[4:5], v[61:62]
	v_add_f64 v[51:52], v[73:74], v[65:66]
	v_fma_f64 v[23:24], v[53:54], s[6:7], v[63:64]
	v_fma_f64 v[17:18], v[17:18], 2.0, -v[21:22]
	v_fma_f64 v[53:54], v[47:48], s[6:7], v[71:72]
	v_fma_f64 v[47:48], v[19:20], 2.0, -v[43:44]
	v_fma_f64 v[63:64], v[85:86], 2.0, -v[55:56]
	;; [unrolled: 1-line block ×7, first 2 shown]
	s_and_saveexec_b32 s1, s0
	s_cbranch_execz .LBB0_19
; %bb.18:
	ds_write_b128 v100, v[17:20]
	ds_write_b128 v100, v[63:66] offset:16
	ds_write_b128 v100, v[47:50] offset:32
	;; [unrolled: 1-line block ×7, first 2 shown]
.LBB0_19:
	s_or_b32 exec_lo, exec_lo, s1
	s_waitcnt lgkmcnt(0)
	s_barrier
	buffer_gl0_inv
	s_and_saveexec_b32 s1, s0
	s_cbranch_execz .LBB0_21
; %bb.20:
	v_or_b32_e32 v22, 0x1c00, v84
	v_add_nc_u32_e32 v21, 0, v84
	v_or_b32_e32 v23, 0x3c00, v84
	ds_read2st64_b64 v[17:20], v83 offset1:2
	ds_read2st64_b64 v[63:66], v83 offset0:4 offset1:6
	ds_read2st64_b64 v[47:50], v83 offset0:8 offset1:10
	ds_read2st64_b64 v[71:74], v21 offset0:12 offset1:28
	v_add_nc_u32_e32 v25, 0, v22
	v_add_nc_u32_e32 v26, 0, v23
	ds_read2st64_b64 v[21:24], v83 offset0:16 offset1:18
	ds_read2st64_b64 v[55:58], v83 offset0:20 offset1:22
	;; [unrolled: 1-line block ×3, first 2 shown]
	ds_read_b64 v[61:62], v25
	ds_read_b64 v[53:54], v26
	s_waitcnt lgkmcnt(5)
	v_mov_b32_e32 v51, v73
	v_mov_b32_e32 v59, v71
	;; [unrolled: 1-line block ×4, first 2 shown]
.LBB0_21:
	s_or_b32 exec_lo, exec_lo, s1
	v_and_b32_e32 v81, 15, v0
	s_mov_b32 s4, 0x667f3bcd
	s_mov_b32 s5, 0x3fe6a09e
	;; [unrolled: 1-line block ×4, first 2 shown]
	v_mul_u32_u24_e32 v25, 15, v81
	v_lshlrev_b32_e32 v82, 4, v25
	s_clause 0x7
	global_load_dwordx4 v[71:74], v82, s[12:13] offset:16
	global_load_dwordx4 v[75:78], v82, s[12:13] offset:32
	;; [unrolled: 1-line block ×6, first 2 shown]
	global_load_dwordx4 v[104:107], v82, s[12:13]
	global_load_dwordx4 v[108:111], v82, s[12:13] offset:48
	s_waitcnt vmcnt(7)
	v_mul_f64 v[25:26], v[63:64], v[73:74]
	v_mul_f64 v[73:74], v[39:40], v[73:74]
	s_waitcnt vmcnt(6)
	v_mul_f64 v[79:80], v[65:66], v[77:78]
	v_mul_f64 v[77:78], v[41:42], v[77:78]
	v_fma_f64 v[25:26], v[39:40], v[71:72], -v[25:26]
	v_fma_f64 v[96:97], v[63:64], v[71:72], v[73:74]
	global_load_dwordx4 v[71:74], v82, s[12:13] offset:64
	s_waitcnt vmcnt(6)
	v_mul_f64 v[63:64], v[59:60], v[86:87]
	v_mul_f64 v[86:87], v[35:36], v[86:87]
	v_fma_f64 v[79:80], v[41:42], v[75:76], -v[79:80]
	v_fma_f64 v[75:76], v[65:66], v[75:76], v[77:78]
	global_load_dwordx4 v[39:42], v82, s[12:13] offset:112
	s_waitcnt vmcnt(6) lgkmcnt(1)
	v_mul_f64 v[77:78], v[61:62], v[90:91]
	v_mul_f64 v[90:91], v[37:38], v[90:91]
	v_fma_f64 v[112:113], v[35:36], v[84:85], -v[63:64]
	global_load_dwordx4 v[63:66], v82, s[12:13] offset:128
	v_fma_f64 v[84:85], v[59:60], v[84:85], v[86:87]
	s_waitcnt vmcnt(6)
	v_mul_f64 v[86:87], v[55:56], v[94:95]
	v_mul_f64 v[94:95], v[31:32], v[94:95]
	v_fma_f64 v[77:78], v[37:38], v[88:89], -v[77:78]
	v_fma_f64 v[88:89], v[61:62], v[88:89], v[90:91]
	s_clause 0x1
	global_load_dwordx4 v[35:38], v82, s[12:13] offset:192
	global_load_dwordx4 v[59:62], v82, s[12:13] offset:176
	v_fma_f64 v[86:87], v[31:32], v[92:93], -v[86:87]
	s_waitcnt vmcnt(7)
	v_mul_f64 v[31:32], v[57:58], v[102:103]
	v_fma_f64 v[90:91], v[55:56], v[92:93], v[94:95]
	v_mul_f64 v[55:56], v[33:34], v[102:103]
	s_waitcnt vmcnt(6)
	v_mul_f64 v[102:103], v[7:8], v[106:107]
	v_fma_f64 v[92:93], v[33:34], v[100:101], -v[31:32]
	global_load_dwordx4 v[31:34], v82, s[12:13] offset:224
	v_fma_f64 v[94:95], v[57:58], v[100:101], v[55:56]
	global_load_dwordx4 v[55:58], v82, s[12:13] offset:208
	v_mul_f64 v[100:101], v[19:20], v[106:107]
	v_fma_f64 v[19:20], v[19:20], v[104:105], v[102:103]
	v_lshlrev_b32_e32 v82, 4, v0
	s_waitcnt vmcnt(0) lgkmcnt(0)
	s_barrier
	buffer_gl0_inv
	v_fma_f64 v[7:8], v[7:8], v[104:105], -v[100:101]
	v_mul_f64 v[106:107], v[49:50], v[73:74]
	v_mul_f64 v[73:74], v[15:16], v[73:74]
	v_fma_f64 v[15:16], v[15:16], v[71:72], -v[106:107]
	v_fma_f64 v[49:50], v[49:50], v[71:72], v[73:74]
	v_mul_f64 v[100:101], v[23:24], v[65:66]
	v_mul_f64 v[65:66], v[3:4], v[65:66]
	;; [unrolled: 1-line block ×4, first 2 shown]
	v_fma_f64 v[3:4], v[3:4], v[63:64], -v[100:101]
	v_fma_f64 v[23:24], v[23:24], v[63:64], v[65:66]
	v_fma_f64 v[11:12], v[11:12], v[35:36], -v[71:72]
	v_fma_f64 v[35:36], v[45:46], v[35:36], v[37:38]
	v_add_f64 v[45:46], v[79:80], -v[92:93]
	v_add_f64 v[71:72], v[96:97], -v[90:91]
	;; [unrolled: 1-line block ×4, first 2 shown]
	v_mul_f64 v[63:64], v[29:30], v[33:34]
	v_mul_f64 v[33:34], v[53:54], v[33:34]
	v_add_f64 v[11:12], v[15:16], -v[11:12]
	v_add_f64 v[35:36], v[49:50], -v[35:36]
	v_fma_f64 v[19:20], v[19:20], 2.0, -v[23:24]
	v_fma_f64 v[37:38], v[53:54], v[31:32], v[63:64]
	v_fma_f64 v[29:30], v[29:30], v[31:32], -v[33:34]
	v_mul_f64 v[31:32], v[27:28], v[57:58]
	v_mul_f64 v[33:34], v[51:52], v[57:58]
	v_add_f64 v[53:54], v[75:76], -v[94:95]
	v_add_f64 v[92:93], v[23:24], v[11:12]
	v_mul_f64 v[57:58], v[13:14], v[110:111]
	v_add_f64 v[37:38], v[88:89], -v[37:38]
	v_add_f64 v[29:30], v[77:78], -v[29:30]
	v_fma_f64 v[31:32], v[51:52], v[55:56], v[31:32]
	v_fma_f64 v[27:28], v[27:28], v[55:56], -v[33:34]
	v_fma_f64 v[33:34], v[7:8], 2.0, -v[3:4]
	v_fma_f64 v[7:8], v[15:16], 2.0, -v[11:12]
	;; [unrolled: 1-line block ×5, first 2 shown]
	v_add_f64 v[35:36], v[3:4], -v[35:36]
	v_mul_f64 v[55:56], v[47:48], v[110:111]
	v_fma_f64 v[23:24], v[23:24], 2.0, -v[92:93]
	v_fma_f64 v[57:58], v[47:48], v[108:109], v[57:58]
	v_add_f64 v[63:64], v[45:46], -v[37:38]
	v_add_f64 v[65:66], v[53:54], v[29:30]
	v_fma_f64 v[11:12], v[88:89], 2.0, -v[37:38]
	v_fma_f64 v[29:30], v[77:78], 2.0, -v[29:30]
	v_add_f64 v[37:38], v[25:26], -v[86:87]
	v_add_f64 v[31:32], v[84:85], -v[31:32]
	;; [unrolled: 1-line block ×5, first 2 shown]
	v_fma_f64 v[86:87], v[3:4], 2.0, -v[35:36]
	v_mul_f64 v[3:4], v[43:44], v[61:62]
	v_mul_f64 v[7:8], v[9:10], v[61:62]
	v_fma_f64 v[45:46], v[45:46], 2.0, -v[63:64]
	v_fma_f64 v[77:78], v[53:54], 2.0, -v[65:66]
	v_add_f64 v[15:16], v[51:52], -v[11:12]
	v_add_f64 v[29:30], v[49:50], -v[29:30]
	v_fma_f64 v[11:12], v[13:14], v[108:109], -v[55:56]
	v_add_f64 v[61:62], v[37:38], -v[31:32]
	v_add_f64 v[88:89], v[71:72], v[27:28]
	v_fma_f64 v[13:14], v[63:64], s[4:5], v[35:36]
	v_fma_f64 v[79:80], v[65:66], s[4:5], v[92:93]
	v_fma_f64 v[55:56], v[96:97], 2.0, -v[71:72]
	v_fma_f64 v[9:10], v[9:10], v[59:60], -v[3:4]
	v_fma_f64 v[43:44], v[43:44], v[59:60], v[7:8]
	v_fma_f64 v[7:8], v[25:26], 2.0, -v[37:38]
	v_fma_f64 v[25:26], v[112:113], 2.0, -v[27:28]
	;; [unrolled: 1-line block ×5, first 2 shown]
	v_fma_f64 v[47:48], v[45:46], s[6:7], v[86:87]
	v_fma_f64 v[90:91], v[77:78], s[6:7], v[23:24]
	v_add_f64 v[94:95], v[73:74], -v[15:16]
	v_add_f64 v[100:101], v[75:76], v[29:30]
	v_fma_f64 v[33:34], v[49:50], 2.0, -v[29:30]
	v_fma_f64 v[37:38], v[37:38], 2.0, -v[61:62]
	v_fma_f64 v[84:85], v[71:72], 2.0, -v[88:89]
	v_fma_f64 v[49:50], v[51:52], 2.0, -v[15:16]
	v_fma_f64 v[15:16], v[65:66], s[6:7], v[13:14]
	v_fma_f64 v[27:28], v[63:64], s[4:5], v[79:80]
	v_mul_f64 v[63:64], v[61:62], s[4:5]
	v_add_f64 v[79:80], v[57:58], -v[43:44]
	v_add_f64 v[59:60], v[7:8], -v[25:26]
	;; [unrolled: 1-line block ×3, first 2 shown]
	v_fma_f64 v[19:20], v[77:78], s[6:7], v[47:48]
	v_fma_f64 v[29:30], v[45:46], s[4:5], v[90:91]
	v_fma_f64 v[13:14], v[73:74], 2.0, -v[94:95]
	v_fma_f64 v[51:52], v[75:76], 2.0, -v[100:101]
	v_add_f64 v[77:78], v[11:12], -v[9:10]
	v_mul_f64 v[73:74], v[88:89], s[4:5]
	v_mul_f64 v[65:66], v[37:38], s[4:5]
	;; [unrolled: 1-line block ×3, first 2 shown]
	v_add_f64 v[33:34], v[3:4], -v[33:34]
	v_add_f64 v[61:62], v[53:54], -v[49:50]
	v_fma_f64 v[31:32], v[35:36], 2.0, -v[15:16]
	v_fma_f64 v[45:46], v[92:93], 2.0, -v[27:28]
	v_mul_f64 v[37:38], v[94:95], s[4:5]
	v_fma_f64 v[35:36], v[86:87], 2.0, -v[19:20]
	v_fma_f64 v[47:48], v[23:24], 2.0, -v[29:30]
	v_mul_f64 v[43:44], v[13:14], s[4:5]
	v_mul_f64 v[49:50], v[51:52], s[4:5]
	;; [unrolled: 1-line block ×3, first 2 shown]
	s_and_saveexec_b32 s1, s0
	s_cbranch_execz .LBB0_23
; %bb.22:
	v_mul_f64 v[9:10], v[21:22], v[41:42]
	v_fma_f64 v[11:12], v[11:12], 2.0, -v[77:78]
	v_fma_f64 v[7:8], v[7:8], 2.0, -v[59:60]
	s_mov_b32 s5, 0x3fed906b
	s_mov_b32 s4, 0xcf328d46
	;; [unrolled: 1-line block ×6, first 2 shown]
	v_fma_f64 v[3:4], v[3:4], 2.0, -v[33:34]
	v_and_or_b32 v98, 0x700, v82, v81
	v_lshl_add_u32 v98, v98, 3, 0
	v_fma_f64 v[9:10], v[1:2], v[39:40], -v[9:10]
	v_add_f64 v[9:10], v[5:6], -v[9:10]
	v_add_f64 v[13:14], v[9:10], -v[79:80]
	v_fma_f64 v[5:6], v[5:6], 2.0, -v[9:10]
	v_fma_f64 v[9:10], v[9:10], 2.0, -v[13:14]
	v_add_f64 v[23:24], v[13:14], v[63:64]
	v_add_f64 v[11:12], v[5:6], -v[11:12]
	v_add_f64 v[25:26], v[9:10], -v[65:66]
	v_add_f64 v[23:24], v[23:24], -v[73:74]
	v_add_f64 v[84:85], v[11:12], -v[71:72]
	v_fma_f64 v[5:6], v[5:6], 2.0, -v[11:12]
	v_add_f64 v[25:26], v[25:26], -v[75:76]
	v_fma_f64 v[13:14], v[13:14], 2.0, -v[23:24]
	v_fma_f64 v[11:12], v[11:12], 2.0, -v[84:85]
	v_add_f64 v[7:8], v[5:6], -v[7:8]
	v_fma_f64 v[86:87], v[15:16], s[4:5], v[23:24]
	v_add_f64 v[88:89], v[84:85], v[37:38]
	s_mov_b32 s5, 0xbfed906b
	v_fma_f64 v[9:10], v[9:10], 2.0, -v[25:26]
	v_fma_f64 v[90:91], v[31:32], s[6:7], v[13:14]
	v_add_f64 v[92:93], v[11:12], -v[43:44]
	v_fma_f64 v[94:95], v[19:20], s[8:9], v[25:26]
	v_fma_f64 v[5:6], v[5:6], 2.0, -v[7:8]
	v_fma_f64 v[86:87], v[27:28], s[6:7], v[86:87]
	v_add_f64 v[88:89], v[88:89], -v[51:52]
	v_add_f64 v[100:101], v[7:8], -v[61:62]
	v_fma_f64 v[96:97], v[35:36], s[4:5], v[9:10]
	v_fma_f64 v[90:91], v[45:46], s[4:5], v[90:91]
	v_add_f64 v[92:93], v[92:93], -v[49:50]
	v_fma_f64 v[94:95], v[29:30], s[4:5], v[94:95]
	v_add_f64 v[3:4], v[5:6], -v[3:4]
	v_fma_f64 v[23:24], v[23:24], 2.0, -v[86:87]
	v_fma_f64 v[84:85], v[84:85], 2.0, -v[88:89]
	;; [unrolled: 1-line block ×3, first 2 shown]
	v_fma_f64 v[96:97], v[47:48], s[6:7], v[96:97]
	v_fma_f64 v[13:14], v[13:14], 2.0, -v[90:91]
	v_fma_f64 v[11:12], v[11:12], 2.0, -v[92:93]
	;; [unrolled: 1-line block ×5, first 2 shown]
	ds_write2_b64 v98, v[84:85], v[23:24] offset0:96 offset1:112
	ds_write2_b64 v98, v[92:93], v[90:91] offset0:160 offset1:176
	;; [unrolled: 1-line block ×6, first 2 shown]
	ds_write2_b64 v98, v[5:6], v[9:10] offset1:16
	ds_write2_b64 v98, v[88:89], v[86:87] offset0:224 offset1:240
.LBB0_23:
	s_or_b32 exec_lo, exec_lo, s1
	s_waitcnt lgkmcnt(0)
	s_barrier
	buffer_gl0_inv
	ds_read2st64_b64 v[3:6], v83 offset1:4
	ds_read2st64_b64 v[11:14], v83 offset0:8 offset1:12
	ds_read2st64_b64 v[7:10], v83 offset0:16 offset1:20
	;; [unrolled: 1-line block ×3, first 2 shown]
	s_waitcnt lgkmcnt(0)
	s_barrier
	buffer_gl0_inv
	s_and_saveexec_b32 s1, s0
	s_cbranch_execz .LBB0_25
; %bb.24:
	v_mul_f64 v[1:2], v[1:2], v[41:42]
	v_fma_f64 v[55:56], v[55:56], 2.0, -v[71:72]
	s_mov_b32 s6, 0xa6aea964
	s_mov_b32 s7, 0x3fd87de2
	;; [unrolled: 1-line block ×6, first 2 shown]
	v_fma_f64 v[53:54], v[53:54], 2.0, -v[61:62]
	v_fma_f64 v[1:2], v[21:22], v[39:40], v[1:2]
	v_fma_f64 v[39:40], v[57:58], 2.0, -v[79:80]
	v_add_f64 v[1:2], v[17:18], -v[1:2]
	v_add_f64 v[21:22], v[1:2], v[77:78]
	v_fma_f64 v[17:18], v[17:18], 2.0, -v[1:2]
	v_fma_f64 v[1:2], v[1:2], 2.0, -v[21:22]
	v_add_f64 v[39:40], v[17:18], -v[39:40]
	v_add_f64 v[41:42], v[21:22], v[73:74]
	v_add_f64 v[57:58], v[1:2], -v[75:76]
	v_add_f64 v[59:60], v[39:40], v[59:60]
	v_add_f64 v[41:42], v[63:64], v[41:42]
	v_fma_f64 v[17:18], v[17:18], 2.0, -v[39:40]
	v_add_f64 v[57:58], v[65:66], v[57:58]
	v_fma_f64 v[39:40], v[39:40], 2.0, -v[59:60]
	v_fma_f64 v[21:22], v[21:22], 2.0, -v[41:42]
	v_add_f64 v[55:56], v[17:18], -v[55:56]
	v_add_f64 v[51:52], v[59:60], v[51:52]
	v_fma_f64 v[1:2], v[1:2], 2.0, -v[57:58]
	v_add_f64 v[49:50], v[39:40], -v[49:50]
	v_fma_f64 v[45:46], v[45:46], s[8:9], v[21:22]
	v_fma_f64 v[29:30], v[29:30], s[6:7], v[57:58]
	v_fma_f64 v[17:18], v[17:18], 2.0, -v[55:56]
	v_add_f64 v[33:34], v[55:56], v[33:34]
	v_add_f64 v[37:38], v[37:38], v[51:52]
	v_fma_f64 v[47:48], v[47:48], s[4:5], v[1:2]
	s_mov_b32 s5, 0x3fed906b
	v_add_f64 v[43:44], v[43:44], v[49:50]
	v_fma_f64 v[27:28], v[27:28], s[4:5], v[41:42]
	v_fma_f64 v[31:32], v[31:32], s[4:5], v[45:46]
	;; [unrolled: 1-line block ×3, first 2 shown]
	v_add_f64 v[51:52], v[17:18], -v[53:54]
	v_fma_f64 v[29:30], v[35:36], s[6:7], v[47:48]
	v_fma_f64 v[35:36], v[59:60], 2.0, -v[37:38]
	v_fma_f64 v[39:40], v[39:40], 2.0, -v[43:44]
	v_fma_f64 v[15:16], v[15:16], s[6:7], v[27:28]
	v_fma_f64 v[21:22], v[21:22], 2.0, -v[31:32]
	v_fma_f64 v[27:28], v[55:56], 2.0, -v[33:34]
	;; [unrolled: 1-line block ×4, first 2 shown]
	v_and_or_b32 v47, 0x700, v82, v81
	v_lshl_add_u32 v47, v47, 3, 0
	v_fma_f64 v[1:2], v[1:2], 2.0, -v[29:30]
	v_fma_f64 v[41:42], v[41:42], 2.0, -v[15:16]
	ds_write2_b64 v47, v[43:44], v[31:32] offset0:160 offset1:176
	ds_write2_b64 v47, v[33:34], v[19:20] offset0:192 offset1:208
	;; [unrolled: 1-line block ×5, first 2 shown]
	ds_write2_b64 v47, v[17:18], v[1:2] offset1:16
	ds_write2_b64 v47, v[35:36], v[41:42] offset0:96 offset1:112
	ds_write2_b64 v47, v[37:38], v[15:16] offset0:224 offset1:240
.LBB0_25:
	s_or_b32 exec_lo, exec_lo, s1
	s_waitcnt lgkmcnt(0)
	s_barrier
	buffer_gl0_inv
	s_and_saveexec_b32 s0, vcc_lo
	s_cbranch_execz .LBB0_27
; %bb.26:
	v_mul_u32_u24_e32 v0, 7, v0
	v_lshlrev_b32_e32 v0, 4, v0
	v_add_co_u32 v2, s0, s12, v0
	v_add_co_ci_u32_e64 v15, null, s13, 0, s0
	s_mov_b32 s0, 0x667f3bcd
	v_add_co_u32 v0, vcc_lo, 0xf00, v2
	v_add_co_ci_u32_e32 v1, vcc_lo, 0, v15, vcc_lo
	v_add_co_u32 v43, vcc_lo, 0xf40, v2
	v_add_co_ci_u32_e32 v44, vcc_lo, 0, v15, vcc_lo
	;; [unrolled: 2-line block ×3, first 2 shown]
	s_clause 0x6
	global_load_dwordx4 v[15:18], v[0:1], off offset:48
	global_load_dwordx4 v[19:22], v[0:1], off offset:16
	;; [unrolled: 1-line block ×7, first 2 shown]
	ds_read2st64_b64 v[47:50], v83 offset0:8 offset1:12
	ds_read2st64_b64 v[51:54], v83 offset0:24 offset1:28
	ds_read2st64_b64 v[55:58], v83 offset1:4
	ds_read2st64_b64 v[59:62], v83 offset0:16 offset1:20
	s_mov_b32 s1, 0x3fe6a09e
	s_waitcnt vmcnt(6)
	v_mul_f64 v[0:1], v[7:8], v[17:18]
	s_waitcnt vmcnt(5) lgkmcnt(3)
	v_mul_f64 v[63:64], v[47:48], v[21:22]
	s_waitcnt vmcnt(4) lgkmcnt(2)
	;; [unrolled: 2-line block ×4, first 2 shown]
	v_mul_f64 v[73:74], v[61:62], v[37:38]
	s_waitcnt vmcnt(1)
	v_mul_f64 v[75:76], v[13:14], v[41:42]
	s_waitcnt vmcnt(0)
	v_mul_f64 v[77:78], v[25:26], v[45:46]
	v_mul_f64 v[33:34], v[5:6], v[33:34]
	;; [unrolled: 1-line block ×8, first 2 shown]
	v_fma_f64 v[0:1], v[59:60], v[15:16], v[0:1]
	v_fma_f64 v[11:12], v[11:12], v[19:20], -v[63:64]
	v_fma_f64 v[23:24], v[23:24], v[27:28], -v[65:66]
	v_fma_f64 v[5:6], v[5:6], v[31:32], -v[71:72]
	v_fma_f64 v[9:10], v[9:10], v[35:36], -v[73:74]
	v_fma_f64 v[49:50], v[49:50], v[39:40], v[75:76]
	v_fma_f64 v[53:54], v[53:54], v[43:44], v[77:78]
	;; [unrolled: 1-line block ×4, first 2 shown]
	v_fma_f64 v[13:14], v[13:14], v[39:40], -v[41:42]
	v_fma_f64 v[25:26], v[25:26], v[43:44], -v[45:46]
	;; [unrolled: 1-line block ×3, first 2 shown]
	v_fma_f64 v[15:16], v[19:20], v[47:48], v[21:22]
	v_fma_f64 v[17:18], v[27:28], v[51:52], v[29:30]
	v_add_f64 v[0:1], v[55:56], -v[0:1]
	v_add_f64 v[19:20], v[11:12], -v[23:24]
	;; [unrolled: 1-line block ×8, first 2 shown]
	v_fma_f64 v[37:38], v[55:56], 2.0, -v[0:1]
	v_add_f64 v[27:28], v[0:1], v[19:20]
	v_fma_f64 v[11:12], v[11:12], 2.0, -v[19:20]
	v_fma_f64 v[5:6], v[5:6], 2.0, -v[9:10]
	v_add_f64 v[29:30], v[9:10], -v[21:22]
	v_fma_f64 v[21:22], v[49:50], 2.0, -v[21:22]
	v_lshlrev_b32_e32 v49, 4, v99
	v_add_f64 v[33:34], v[23:24], v[25:26]
	v_fma_f64 v[2:3], v[3:4], 2.0, -v[7:8]
	v_fma_f64 v[13:14], v[13:14], 2.0, -v[25:26]
	v_add_f64 v[35:36], v[7:8], -v[17:18]
	v_fma_f64 v[15:16], v[15:16], 2.0, -v[17:18]
	v_fma_f64 v[17:18], v[31:32], 2.0, -v[23:24]
	v_mul_lo_u32 v4, s3, v69
	s_mov_b32 s3, 0xbfe6a09e
	v_or_b32_e32 v50, 0x1000, v49
	v_or_b32_e32 v51, 0x2000, v49
	;; [unrolled: 1-line block ×6, first 2 shown]
	v_fma_f64 v[25:26], v[0:1], 2.0, -v[27:28]
	v_mad_u64_u32 v[0:1], null, s2, v69, 0
	v_or_b32_e32 v56, 0x7000, v49
	v_fma_f64 v[9:10], v[9:10], 2.0, -v[29:30]
	v_fma_f64 v[19:20], v[23:24], 2.0, -v[33:34]
	v_add_f64 v[39:40], v[2:3], -v[11:12]
	v_lshlrev_b64 v[11:12], 4, v[67:68]
	v_fma_f64 v[31:32], v[7:8], 2.0, -v[35:36]
	v_add_f64 v[23:24], v[37:38], -v[15:16]
	v_add_f64 v[15:16], v[17:18], -v[21:22]
	;; [unrolled: 1-line block ×3, first 2 shown]
	v_mul_lo_u32 v13, s2, v70
	v_fma_f64 v[21:22], v[29:30], s[0:1], v[35:36]
	s_mov_b32 s2, s0
	v_add3_u32 v1, v1, v13, v4
	v_fma_f64 v[13:14], v[33:34], s[0:1], v[27:28]
	v_lshlrev_b64 v[0:1], 4, v[0:1]
	v_fma_f64 v[41:42], v[19:20], s[2:3], v[25:26]
	v_fma_f64 v[45:46], v[2:3], 2.0, -v[39:40]
	v_fma_f64 v[43:44], v[9:10], s[2:3], v[31:32]
	v_fma_f64 v[37:38], v[37:38], 2.0, -v[23:24]
	v_fma_f64 v[17:18], v[17:18], 2.0, -v[15:16]
	;; [unrolled: 1-line block ×3, first 2 shown]
	v_add_co_u32 v0, vcc_lo, s10, v0
	v_add_co_ci_u32_e32 v1, vcc_lo, s11, v1, vcc_lo
	v_add_f64 v[6:7], v[23:24], v[7:8]
	v_add_co_u32 v57, vcc_lo, v0, v11
	v_add_f64 v[4:5], v[39:40], -v[15:16]
	v_add_co_ci_u32_e32 v58, vcc_lo, v1, v12, vcc_lo
	v_fma_f64 v[2:3], v[29:30], s[0:1], v[13:14]
	v_fma_f64 v[0:1], v[33:34], s[2:3], v[21:22]
	v_add_co_u32 v33, vcc_lo, v57, v49
	v_add_co_ci_u32_e32 v34, vcc_lo, 0, v58, vcc_lo
	v_fma_f64 v[10:11], v[9:10], s[0:1], v[41:42]
	v_add_co_u32 v41, vcc_lo, v57, v50
	v_fma_f64 v[8:9], v[19:20], s[2:3], v[43:44]
	v_add_f64 v[14:15], v[37:38], -v[17:18]
	v_add_f64 v[12:13], v[45:46], -v[47:48]
	v_add_co_ci_u32_e32 v42, vcc_lo, 0, v58, vcc_lo
	v_add_co_u32 v43, vcc_lo, v57, v51
	v_fma_f64 v[22:23], v[23:24], 2.0, -v[6:7]
	v_add_co_ci_u32_e32 v44, vcc_lo, 0, v58, vcc_lo
	v_fma_f64 v[20:21], v[39:40], 2.0, -v[4:5]
	v_add_co_u32 v47, vcc_lo, v57, v52
	v_fma_f64 v[18:19], v[27:28], 2.0, -v[2:3]
	v_fma_f64 v[16:17], v[35:36], 2.0, -v[0:1]
	v_add_co_ci_u32_e32 v48, vcc_lo, 0, v58, vcc_lo
	v_add_co_u32 v35, vcc_lo, v57, v53
	v_fma_f64 v[26:27], v[25:26], 2.0, -v[10:11]
	v_add_co_ci_u32_e32 v36, vcc_lo, 0, v58, vcc_lo
	v_fma_f64 v[24:25], v[31:32], 2.0, -v[8:9]
	v_fma_f64 v[30:31], v[37:38], 2.0, -v[14:15]
	;; [unrolled: 1-line block ×3, first 2 shown]
	v_add_co_u32 v37, vcc_lo, v57, v54
	v_add_co_ci_u32_e32 v38, vcc_lo, 0, v58, vcc_lo
	v_add_co_u32 v39, vcc_lo, v57, v55
	v_add_co_ci_u32_e32 v40, vcc_lo, 0, v58, vcc_lo
	;; [unrolled: 2-line block ×3, first 2 shown]
	global_store_dwordx4 v[39:40], v[4:7], off
	global_store_dwordx4 v[43:44], v[20:23], off
	;; [unrolled: 1-line block ×8, first 2 shown]
.LBB0_27:
	s_endpgm
	.section	.rodata,"a",@progbits
	.p2align	6, 0x0
	.amdhsa_kernel fft_rtc_fwd_len2048_factors_16_16_8_wgs_256_tpt_256_halfLds_dp_op_CI_CI_unitstride_sbrr_dirReg
		.amdhsa_group_segment_fixed_size 0
		.amdhsa_private_segment_fixed_size 0
		.amdhsa_kernarg_size 104
		.amdhsa_user_sgpr_count 6
		.amdhsa_user_sgpr_private_segment_buffer 1
		.amdhsa_user_sgpr_dispatch_ptr 0
		.amdhsa_user_sgpr_queue_ptr 0
		.amdhsa_user_sgpr_kernarg_segment_ptr 1
		.amdhsa_user_sgpr_dispatch_id 0
		.amdhsa_user_sgpr_flat_scratch_init 0
		.amdhsa_user_sgpr_private_segment_size 0
		.amdhsa_wavefront_size32 1
		.amdhsa_uses_dynamic_stack 0
		.amdhsa_system_sgpr_private_segment_wavefront_offset 0
		.amdhsa_system_sgpr_workgroup_id_x 1
		.amdhsa_system_sgpr_workgroup_id_y 0
		.amdhsa_system_sgpr_workgroup_id_z 0
		.amdhsa_system_sgpr_workgroup_info 0
		.amdhsa_system_vgpr_workitem_id 0
		.amdhsa_next_free_vgpr 114
		.amdhsa_next_free_sgpr 27
		.amdhsa_reserve_vcc 1
		.amdhsa_reserve_flat_scratch 0
		.amdhsa_float_round_mode_32 0
		.amdhsa_float_round_mode_16_64 0
		.amdhsa_float_denorm_mode_32 3
		.amdhsa_float_denorm_mode_16_64 3
		.amdhsa_dx10_clamp 1
		.amdhsa_ieee_mode 1
		.amdhsa_fp16_overflow 0
		.amdhsa_workgroup_processor_mode 1
		.amdhsa_memory_ordered 1
		.amdhsa_forward_progress 0
		.amdhsa_shared_vgpr_count 0
		.amdhsa_exception_fp_ieee_invalid_op 0
		.amdhsa_exception_fp_denorm_src 0
		.amdhsa_exception_fp_ieee_div_zero 0
		.amdhsa_exception_fp_ieee_overflow 0
		.amdhsa_exception_fp_ieee_underflow 0
		.amdhsa_exception_fp_ieee_inexact 0
		.amdhsa_exception_int_div_zero 0
	.end_amdhsa_kernel
	.text
.Lfunc_end0:
	.size	fft_rtc_fwd_len2048_factors_16_16_8_wgs_256_tpt_256_halfLds_dp_op_CI_CI_unitstride_sbrr_dirReg, .Lfunc_end0-fft_rtc_fwd_len2048_factors_16_16_8_wgs_256_tpt_256_halfLds_dp_op_CI_CI_unitstride_sbrr_dirReg
                                        ; -- End function
	.section	.AMDGPU.csdata,"",@progbits
; Kernel info:
; codeLenInByte = 7172
; NumSgprs: 29
; NumVgprs: 114
; ScratchSize: 0
; MemoryBound: 1
; FloatMode: 240
; IeeeMode: 1
; LDSByteSize: 0 bytes/workgroup (compile time only)
; SGPRBlocks: 3
; VGPRBlocks: 14
; NumSGPRsForWavesPerEU: 29
; NumVGPRsForWavesPerEU: 114
; Occupancy: 8
; WaveLimiterHint : 1
; COMPUTE_PGM_RSRC2:SCRATCH_EN: 0
; COMPUTE_PGM_RSRC2:USER_SGPR: 6
; COMPUTE_PGM_RSRC2:TRAP_HANDLER: 0
; COMPUTE_PGM_RSRC2:TGID_X_EN: 1
; COMPUTE_PGM_RSRC2:TGID_Y_EN: 0
; COMPUTE_PGM_RSRC2:TGID_Z_EN: 0
; COMPUTE_PGM_RSRC2:TIDIG_COMP_CNT: 0
	.text
	.p2alignl 6, 3214868480
	.fill 48, 4, 3214868480
	.type	__hip_cuid_6a4f692193e4a851,@object ; @__hip_cuid_6a4f692193e4a851
	.section	.bss,"aw",@nobits
	.globl	__hip_cuid_6a4f692193e4a851
__hip_cuid_6a4f692193e4a851:
	.byte	0                               ; 0x0
	.size	__hip_cuid_6a4f692193e4a851, 1

	.ident	"AMD clang version 19.0.0git (https://github.com/RadeonOpenCompute/llvm-project roc-6.4.0 25133 c7fe45cf4b819c5991fe208aaa96edf142730f1d)"
	.section	".note.GNU-stack","",@progbits
	.addrsig
	.addrsig_sym __hip_cuid_6a4f692193e4a851
	.amdgpu_metadata
---
amdhsa.kernels:
  - .args:
      - .actual_access:  read_only
        .address_space:  global
        .offset:         0
        .size:           8
        .value_kind:     global_buffer
      - .offset:         8
        .size:           8
        .value_kind:     by_value
      - .actual_access:  read_only
        .address_space:  global
        .offset:         16
        .size:           8
        .value_kind:     global_buffer
      - .actual_access:  read_only
        .address_space:  global
        .offset:         24
        .size:           8
        .value_kind:     global_buffer
      - .actual_access:  read_only
        .address_space:  global
        .offset:         32
        .size:           8
        .value_kind:     global_buffer
      - .offset:         40
        .size:           8
        .value_kind:     by_value
      - .actual_access:  read_only
        .address_space:  global
        .offset:         48
        .size:           8
        .value_kind:     global_buffer
      - .actual_access:  read_only
        .address_space:  global
        .offset:         56
        .size:           8
        .value_kind:     global_buffer
      - .offset:         64
        .size:           4
        .value_kind:     by_value
      - .actual_access:  read_only
        .address_space:  global
        .offset:         72
        .size:           8
        .value_kind:     global_buffer
      - .actual_access:  read_only
        .address_space:  global
        .offset:         80
        .size:           8
        .value_kind:     global_buffer
      - .actual_access:  read_only
        .address_space:  global
        .offset:         88
        .size:           8
        .value_kind:     global_buffer
      - .actual_access:  write_only
        .address_space:  global
        .offset:         96
        .size:           8
        .value_kind:     global_buffer
    .group_segment_fixed_size: 0
    .kernarg_segment_align: 8
    .kernarg_segment_size: 104
    .language:       OpenCL C
    .language_version:
      - 2
      - 0
    .max_flat_workgroup_size: 256
    .name:           fft_rtc_fwd_len2048_factors_16_16_8_wgs_256_tpt_256_halfLds_dp_op_CI_CI_unitstride_sbrr_dirReg
    .private_segment_fixed_size: 0
    .sgpr_count:     29
    .sgpr_spill_count: 0
    .symbol:         fft_rtc_fwd_len2048_factors_16_16_8_wgs_256_tpt_256_halfLds_dp_op_CI_CI_unitstride_sbrr_dirReg.kd
    .uniform_work_group_size: 1
    .uses_dynamic_stack: false
    .vgpr_count:     114
    .vgpr_spill_count: 0
    .wavefront_size: 32
    .workgroup_processor_mode: 1
amdhsa.target:   amdgcn-amd-amdhsa--gfx1030
amdhsa.version:
  - 1
  - 2
...

	.end_amdgpu_metadata
